;; amdgpu-corpus repo=ROCm/rocFFT kind=compiled arch=gfx906 opt=O3
	.text
	.amdgcn_target "amdgcn-amd-amdhsa--gfx906"
	.amdhsa_code_object_version 6
	.protected	fft_rtc_fwd_len256_factors_4_4_4_4_wgs_256_tpt_32_dp_op_CI_CI_sbrc_xy_z_aligned_dirReg ; -- Begin function fft_rtc_fwd_len256_factors_4_4_4_4_wgs_256_tpt_32_dp_op_CI_CI_sbrc_xy_z_aligned_dirReg
	.globl	fft_rtc_fwd_len256_factors_4_4_4_4_wgs_256_tpt_32_dp_op_CI_CI_sbrc_xy_z_aligned_dirReg
	.p2align	8
	.type	fft_rtc_fwd_len256_factors_4_4_4_4_wgs_256_tpt_32_dp_op_CI_CI_sbrc_xy_z_aligned_dirReg,@function
fft_rtc_fwd_len256_factors_4_4_4_4_wgs_256_tpt_32_dp_op_CI_CI_sbrc_xy_z_aligned_dirReg: ; @fft_rtc_fwd_len256_factors_4_4_4_4_wgs_256_tpt_32_dp_op_CI_CI_sbrc_xy_z_aligned_dirReg
; %bb.0:
	s_load_dwordx4 s[12:15], s[4:5], 0x10
	s_mov_b32 s7, 0
	s_mov_b32 s29, s7
	s_mov_b64 s[30:31], 0
	s_waitcnt lgkmcnt(0)
	s_load_dwordx4 s[20:23], s[12:13], 0x8
	s_load_dwordx2 s[24:25], s[4:5], 0x0
	s_load_dwordx4 s[8:11], s[4:5], 0x58
	s_load_dwordx2 s[26:27], s[4:5], 0x20
	s_waitcnt lgkmcnt(0)
	s_add_i32 s0, s22, -1
	s_lshr_b32 s0, s0, 3
	s_add_i32 s0, s0, 1
	s_mul_i32 s28, s0, s20
	v_cvt_f32_u32_e32 v1, s28
	s_load_dwordx4 s[16:19], s[14:15], 0x0
	s_load_dwordx2 s[22:23], s[14:15], 0x10
	s_load_dwordx4 s[0:3], s[26:27], 0x0
	s_load_dwordx2 s[12:13], s[26:27], 0x10
	s_waitcnt lgkmcnt(0)
	s_sub_i32 s3, 0, s28
	v_rcp_iflag_f32_e32 v1, v1
	v_mul_f32_e32 v1, 0x4f7ffffe, v1
	v_cvt_u32_f32_e32 v3, v1
	v_mov_b32_e32 v1, s20
	v_mov_b32_e32 v2, s21
	v_readfirstlane_b32 s13, v3
	s_mul_i32 s3, s3, s13
	s_mul_hi_u32 s3, s13, s3
	s_add_i32 s13, s13, s3
	s_mul_hi_u32 s3, s6, s13
	s_mul_i32 s13, s3, s28
	s_sub_i32 s13, s6, s13
	s_add_i32 s19, s3, 1
	s_sub_i32 s23, s13, s28
	s_cmp_ge_u32 s13, s28
	s_cselect_b32 s3, s19, s3
	s_cselect_b32 s13, s23, s13
	s_add_i32 s19, s3, 1
	s_cmp_ge_u32 s13, s28
	s_cselect_b32 s3, s19, s3
	s_mul_i32 s13, s3, s28
	s_sub_i32 s28, s6, s13
	v_cmp_lt_u64_e32 vcc, s[28:29], v[1:2]
	v_cvt_f32_u32_e32 v1, s20
	s_cbranch_vccnz .LBB0_2
; %bb.1:
	v_rcp_iflag_f32_e32 v2, v1
	s_sub_i32 s13, 0, s20
	v_mul_f32_e32 v2, 0x4f7ffffe, v2
	v_cvt_u32_f32_e32 v2, v2
	v_readfirstlane_b32 s19, v2
	s_mul_i32 s13, s13, s19
	s_mul_hi_u32 s13, s19, s13
	s_add_i32 s19, s19, s13
	s_mul_hi_u32 s13, s28, s19
	s_mul_i32 s23, s13, s20
	s_sub_i32 s23, s28, s23
	s_add_i32 s19, s13, 1
	s_sub_i32 s28, s23, s20
	s_cmp_ge_u32 s23, s20
	s_cselect_b32 s13, s19, s13
	s_cselect_b32 s23, s28, s23
	s_add_i32 s19, s13, 1
	s_cmp_ge_u32 s23, s20
	s_cselect_b32 s30, s19, s13
.LBB0_2:
	v_mov_b32_e32 v2, s20
	v_mov_b32_e32 v3, s21
	v_cmp_lt_u64_e32 vcc, s[6:7], v[2:3]
	s_cbranch_vccnz .LBB0_4
; %bb.3:
	v_rcp_iflag_f32_e32 v1, v1
	s_sub_i32 s7, 0, s20
	v_mul_f32_e32 v1, 0x4f7ffffe, v1
	v_cvt_u32_f32_e32 v1, v1
	v_readfirstlane_b32 s13, v1
	s_mul_i32 s7, s7, s13
	s_mul_hi_u32 s7, s13, s7
	s_add_i32 s13, s13, s7
	s_mul_hi_u32 s7, s6, s13
	s_mul_i32 s7, s7, s20
	s_sub_i32 s6, s6, s7
	s_sub_i32 s7, s6, s20
	s_cmp_ge_u32 s6, s20
	s_cselect_b32 s6, s7, s6
	s_sub_i32 s7, s6, s20
	s_cmp_ge_u32 s6, s20
	s_cselect_b32 s6, s7, s6
.LBB0_4:
	s_load_dwordx2 s[20:21], s[4:5], 0x8
	s_lshl_b32 s13, s30, 3
	s_mul_i32 s4, s6, s18
	s_mul_i32 s5, s13, s22
	s_add_i32 s4, s4, s5
	s_waitcnt lgkmcnt(0)
	s_lshl_b64 s[18:19], s[20:21], 3
	s_add_u32 s14, s14, s18
	s_addc_u32 s15, s15, s19
	s_load_dwordx2 s[20:21], s[14:15], 0x0
	v_mad_u64_u32 v[1:2], s[14:15], s16, v0, 0
	s_mov_b32 s5, 0
	s_mov_b32 s23, s5
	s_waitcnt lgkmcnt(0)
	s_mul_i32 s7, s21, s3
	s_mul_hi_u32 s14, s20, s3
	s_add_i32 s21, s14, s7
	s_add_u32 s14, s26, s18
	s_addc_u32 s15, s27, s19
	s_load_dwordx2 s[14:15], s[14:15], 0x0
	v_mad_u64_u32 v[2:3], s[16:17], s17, v0, v[2:3]
	s_mul_i32 s20, s20, s3
	s_lshl_b64 s[16:17], s[20:21], 4
	s_waitcnt lgkmcnt(0)
	s_mul_i32 s7, s15, s3
	s_mul_hi_u32 s15, s14, s3
	s_add_i32 s7, s15, s7
	s_add_u32 s15, s8, s16
	s_addc_u32 s16, s9, s17
	s_lshl_b64 s[8:9], s[4:5], 4
	s_add_u32 s4, s15, s8
	v_lshlrev_b64 v[1:2], 4, v[1:2]
	s_addc_u32 s8, s16, s9
	v_mov_b32_e32 v3, s8
	v_add_co_u32_e32 v1, vcc, s4, v1
	v_addc_co_u32_e32 v2, vcc, v3, v2, vcc
	s_lshl_b64 s[8:9], s[22:23], 4
	v_mov_b32_e32 v4, s9
	v_add_co_u32_e32 v3, vcc, s8, v1
	s_add_i32 s4, s22, s22
	v_addc_co_u32_e32 v4, vcc, v2, v4, vcc
	s_lshl_b64 s[8:9], s[4:5], 4
	global_load_dwordx4 v[6:9], v[1:2], off
	global_load_dwordx4 v[10:13], v[3:4], off
	s_add_i32 s4, s4, s22
	v_mov_b32_e32 v4, s9
	v_add_co_u32_e32 v3, vcc, s8, v1
	s_lshl_b64 s[16:17], s[4:5], 4
	v_addc_co_u32_e32 v4, vcc, v2, v4, vcc
	s_add_i32 s4, s4, s22
	v_mov_b32_e32 v5, s17
	v_add_co_u32_e32 v22, vcc, s16, v1
	s_lshl_b64 s[8:9], s[4:5], 4
	v_addc_co_u32_e32 v23, vcc, v2, v5, vcc
	;; [unrolled: 5-line block ×3, first 2 shown]
	s_add_i32 s4, s4, s22
	v_mov_b32_e32 v5, s17
	global_load_dwordx4 v[14:17], v[3:4], off
	global_load_dwordx4 v[18:21], v[22:23], off
	v_add_co_u32_e32 v3, vcc, s16, v1
	s_lshl_b64 s[8:9], s[4:5], 4
	v_addc_co_u32_e32 v4, vcc, v2, v5, vcc
	s_add_i32 s4, s4, s22
	v_mov_b32_e32 v5, s9
	v_add_co_u32_e32 v38, vcc, s8, v1
	s_lshl_b64 s[16:17], s[4:5], 4
	v_addc_co_u32_e32 v39, vcc, v2, v5, vcc
	v_mov_b32_e32 v5, s17
	v_add_co_u32_e32 v1, vcc, s16, v1
	global_load_dwordx4 v[22:25], v[30:31], off
	global_load_dwordx4 v[26:29], v[3:4], off
	v_addc_co_u32_e32 v2, vcc, v2, v5, vcc
	global_load_dwordx4 v[30:33], v[38:39], off
	global_load_dwordx4 v[34:37], v[1:2], off
	v_and_b32_e32 v2, 7, v0
	v_lshrrev_b32_e32 v1, 3, v0
	v_lshlrev_b32_e32 v3, 7, v1
	v_lshlrev_b32_e32 v5, 4, v2
	v_lshl_add_u32 v4, v0, 7, 0
	v_add3_u32 v3, 0, v3, v5
	s_movk_i32 s4, 0x180
	v_bfe_u32 v48, v0, 3, 2
	v_lshlrev_b32_e32 v49, 2, v1
	s_movk_i32 s8, 0xf0
	v_bfe_u32 v0, v0, 3, 4
	v_mul_u32_u24_e32 v50, 3, v0
	s_waitcnt vmcnt(7)
	ds_write_b128 v4, v[6:9]
	s_waitcnt vmcnt(6)
	ds_write_b128 v4, v[10:13] offset:16
	s_waitcnt vmcnt(5)
	ds_write_b128 v4, v[14:17] offset:32
	;; [unrolled: 2-line block ×7, first 2 shown]
	s_waitcnt lgkmcnt(0)
	s_barrier
	ds_read_b128 v[6:9], v3 offset:16384
	ds_read_b128 v[10:13], v3 offset:8192
	ds_read_b128 v[14:17], v3 offset:12288
	ds_read_b128 v[18:21], v3 offset:24576
	ds_read_b128 v[22:25], v3 offset:28672
	ds_read_b128 v[26:29], v3
	ds_read_b128 v[30:33], v3 offset:4096
	ds_read_b128 v[34:37], v3 offset:20480
	s_waitcnt lgkmcnt(4)
	v_add_f64 v[20:21], v[12:13], -v[20:21]
	v_add_f64 v[18:19], v[10:11], -v[18:19]
	s_waitcnt lgkmcnt(2)
	v_add_f64 v[38:39], v[26:27], -v[6:7]
	v_add_f64 v[40:41], v[28:29], -v[8:9]
	;; [unrolled: 3-line block ×3, first 2 shown]
	v_add_f64 v[42:43], v[14:15], -v[22:23]
	v_add_f64 v[22:23], v[16:17], -v[24:25]
	v_mad_u32_u24 v4, v1, s4, v3
	v_add_f64 v[6:7], v[38:39], -v[20:21]
	v_add_f64 v[8:9], v[40:41], v[18:19]
	v_fma_f64 v[18:19], v[10:11], 2.0, -v[18:19]
	v_fma_f64 v[20:21], v[12:13], 2.0, -v[20:21]
	;; [unrolled: 1-line block ×9, first 2 shown]
	v_add_f64 v[22:23], v[34:35], -v[22:23]
	v_add_f64 v[14:15], v[26:27], -v[18:19]
	v_add_f64 v[16:17], v[28:29], -v[20:21]
	v_fma_f64 v[12:13], v[40:41], 2.0, -v[8:9]
	s_barrier
	v_add_f64 v[18:19], v[30:31], -v[24:25]
	v_add_f64 v[20:21], v[32:33], -v[38:39]
	v_add_f64 v[24:25], v[36:37], v[42:43]
	v_fma_f64 v[26:27], v[26:27], 2.0, -v[14:15]
	v_fma_f64 v[28:29], v[28:29], 2.0, -v[16:17]
	ds_write_b128 v4, v[6:9] offset:384
	ds_write_b128 v4, v[10:13] offset:128
	;; [unrolled: 1-line block ×3, first 2 shown]
	ds_write_b128 v4, v[26:29]
	v_fma_f64 v[6:7], v[30:31], 2.0, -v[18:19]
	v_fma_f64 v[8:9], v[32:33], 2.0, -v[20:21]
	v_fma_f64 v[30:31], v[34:35], 2.0, -v[22:23]
	v_fma_f64 v[32:33], v[36:37], 2.0, -v[24:25]
	v_or_b32_e32 v4, 32, v1
	v_lshlrev_b32_e32 v10, 9, v4
	v_add3_u32 v44, 0, v10, v5
	ds_write_b128 v44, v[6:9]
	ds_write_b128 v44, v[30:33] offset:128
	ds_write_b128 v44, v[18:21] offset:256
	;; [unrolled: 1-line block ×3, first 2 shown]
	v_mul_u32_u24_e32 v6, 3, v48
	v_lshlrev_b32_e32 v18, 4, v6
	s_waitcnt lgkmcnt(0)
	s_barrier
	global_load_dwordx4 v[6:9], v18, s[24:25]
	global_load_dwordx4 v[10:13], v18, s[24:25] offset:16
	global_load_dwordx4 v[14:17], v18, s[24:25] offset:32
	ds_read_b128 v[18:21], v3 offset:8192
	ds_read_b128 v[22:25], v3
	ds_read_b128 v[26:29], v3 offset:12288
	ds_read_b128 v[30:33], v3 offset:16384
	s_movk_i32 s4, 0xfe80
	s_waitcnt vmcnt(2) lgkmcnt(3)
	v_mul_f64 v[34:35], v[20:21], v[8:9]
	v_mul_f64 v[36:37], v[18:19], v[8:9]
	s_waitcnt lgkmcnt(1)
	v_mul_f64 v[38:39], v[28:29], v[8:9]
	v_mul_f64 v[8:9], v[26:27], v[8:9]
	s_waitcnt vmcnt(1) lgkmcnt(0)
	v_mul_f64 v[40:41], v[32:33], v[12:13]
	v_mul_f64 v[42:43], v[30:31], v[12:13]
	v_fma_f64 v[34:35], v[18:19], v[6:7], -v[34:35]
	v_fma_f64 v[36:37], v[20:21], v[6:7], v[36:37]
	v_fma_f64 v[26:27], v[26:27], v[6:7], -v[38:39]
	v_fma_f64 v[28:29], v[28:29], v[6:7], v[8:9]
	ds_read_b128 v[6:9], v3 offset:20480
	ds_read_b128 v[18:21], v3 offset:24576
	v_fma_f64 v[30:31], v[30:31], v[10:11], -v[40:41]
	v_fma_f64 v[32:33], v[32:33], v[10:11], v[42:43]
	s_waitcnt lgkmcnt(1)
	v_mul_f64 v[38:39], v[8:9], v[12:13]
	v_mul_f64 v[12:13], v[6:7], v[12:13]
	s_waitcnt vmcnt(0) lgkmcnt(0)
	v_mul_f64 v[40:41], v[20:21], v[16:17]
	v_mul_f64 v[42:43], v[18:19], v[16:17]
	v_add_f64 v[30:31], v[22:23], -v[30:31]
	v_add_f64 v[32:33], v[24:25], -v[32:33]
	v_fma_f64 v[38:39], v[6:7], v[10:11], -v[38:39]
	v_fma_f64 v[11:12], v[8:9], v[10:11], v[12:13]
	ds_read_b128 v[7:10], v3 offset:28672
	v_mad_i32_i24 v6, v4, s4, v44
	v_fma_f64 v[40:41], v[18:19], v[14:15], -v[40:41]
	v_fma_f64 v[42:43], v[20:21], v[14:15], v[42:43]
	ds_read_b128 v[18:21], v6
	s_waitcnt lgkmcnt(1)
	v_mul_f64 v[44:45], v[9:10], v[16:17]
	s_movk_i32 s4, 0x70
	s_waitcnt lgkmcnt(0)
	s_barrier
	v_add_f64 v[38:39], v[18:19], -v[38:39]
	v_fma_f64 v[44:45], v[7:8], v[14:15], -v[44:45]
	v_mul_f64 v[7:8], v[7:8], v[16:17]
	v_fma_f64 v[7:8], v[9:10], v[14:15], v[7:8]
	v_add_f64 v[9:10], v[34:35], -v[40:41]
	v_add_f64 v[13:14], v[36:37], -v[42:43]
	;; [unrolled: 1-line block ×4, first 2 shown]
	v_fma_f64 v[42:43], v[22:23], 2.0, -v[30:31]
	v_fma_f64 v[44:45], v[24:25], 2.0, -v[32:33]
	v_add_f64 v[11:12], v[28:29], -v[7:8]
	v_fma_f64 v[22:23], v[34:35], 2.0, -v[9:10]
	v_fma_f64 v[24:25], v[36:37], 2.0, -v[13:14]
	;; [unrolled: 1-line block ×5, first 2 shown]
	v_add_f64 v[7:8], v[30:31], -v[13:14]
	v_add_f64 v[9:10], v[32:33], v[9:10]
	v_fma_f64 v[26:27], v[28:29], 2.0, -v[11:12]
	v_add_f64 v[13:14], v[40:41], v[15:16]
	v_add_f64 v[15:16], v[42:43], -v[22:23]
	v_add_f64 v[17:18], v[44:45], -v[24:25]
	;; [unrolled: 1-line block ×4, first 2 shown]
	v_fma_f64 v[23:24], v[30:31], 2.0, -v[7:8]
	v_add_f64 v[21:22], v[46:47], -v[26:27]
	v_fma_f64 v[25:26], v[32:33], 2.0, -v[9:10]
	v_fma_f64 v[31:32], v[42:43], 2.0, -v[15:16]
	;; [unrolled: 1-line block ×6, first 2 shown]
	v_and_or_b32 v39, v49, s4, v48
	v_fma_f64 v[37:38], v[46:47], 2.0, -v[21:22]
	v_lshlrev_b32_e32 v45, 2, v4
	v_lshlrev_b32_e32 v39, 7, v39
	v_and_or_b32 v40, v45, s8, v48
	v_lshlrev_b32_e32 v41, 4, v50
	v_add3_u32 v39, 0, v39, v5
	v_lshlrev_b32_e32 v40, 7, v40
	v_add3_u32 v40, 0, v40, v5
	ds_write_b128 v39, v[7:10] offset:1536
	ds_write_b128 v39, v[23:26] offset:512
	;; [unrolled: 1-line block ×3, first 2 shown]
	ds_write_b128 v39, v[31:34]
	ds_write_b128 v40, v[35:38]
	ds_write_b128 v40, v[27:30] offset:512
	ds_write_b128 v40, v[19:22] offset:1024
	;; [unrolled: 1-line block ×3, first 2 shown]
	s_waitcnt lgkmcnt(0)
	s_barrier
	global_load_dwordx4 v[7:10], v41, s[24:25] offset:192
	global_load_dwordx4 v[11:14], v41, s[24:25] offset:208
	ds_read_b128 v[15:18], v3 offset:8192
	ds_read_b128 v[19:22], v3 offset:12288
	ds_read_b128 v[23:26], v3
	ds_read_b128 v[27:30], v3 offset:16384
	s_movk_i32 s4, 0xc0
	s_waitcnt vmcnt(1) lgkmcnt(3)
	v_mul_f64 v[31:32], v[17:18], v[9:10]
	v_mul_f64 v[33:34], v[15:16], v[9:10]
	s_waitcnt lgkmcnt(2)
	v_mul_f64 v[35:36], v[21:22], v[9:10]
	v_mul_f64 v[9:10], v[19:20], v[9:10]
	s_waitcnt vmcnt(0) lgkmcnt(0)
	v_mul_f64 v[37:38], v[29:30], v[13:14]
	v_mul_f64 v[39:40], v[27:28], v[13:14]
	v_fma_f64 v[31:32], v[15:16], v[7:8], -v[31:32]
	v_fma_f64 v[33:34], v[17:18], v[7:8], v[33:34]
	v_fma_f64 v[19:20], v[19:20], v[7:8], -v[35:36]
	v_fma_f64 v[21:22], v[21:22], v[7:8], v[9:10]
	ds_read_b128 v[7:10], v3 offset:20480
	ds_read_b128 v[15:18], v3 offset:24576
	v_fma_f64 v[27:28], v[27:28], v[11:12], -v[37:38]
	v_fma_f64 v[29:30], v[29:30], v[11:12], v[39:40]
	s_waitcnt lgkmcnt(1)
	v_mul_f64 v[35:36], v[9:10], v[13:14]
	v_mul_f64 v[13:14], v[7:8], v[13:14]
	v_add_f64 v[27:28], v[23:24], -v[27:28]
	v_add_f64 v[29:30], v[25:26], -v[29:30]
	v_fma_f64 v[35:36], v[7:8], v[11:12], -v[35:36]
	v_fma_f64 v[37:38], v[9:10], v[11:12], v[13:14]
	global_load_dwordx4 v[7:10], v41, s[24:25] offset:224
	s_waitcnt vmcnt(0) lgkmcnt(0)
	v_mul_f64 v[11:12], v[17:18], v[9:10]
	v_mul_f64 v[13:14], v[15:16], v[9:10]
	v_fma_f64 v[39:40], v[15:16], v[7:8], -v[11:12]
	v_fma_f64 v[41:42], v[17:18], v[7:8], v[13:14]
	ds_read_b128 v[11:14], v3 offset:28672
	ds_read_b128 v[15:18], v6
	s_waitcnt lgkmcnt(0)
	s_barrier
	v_mul_f64 v[43:44], v[13:14], v[9:10]
	v_mul_f64 v[9:10], v[11:12], v[9:10]
	v_add_f64 v[35:36], v[15:16], -v[35:36]
	v_fma_f64 v[43:44], v[11:12], v[7:8], -v[43:44]
	v_fma_f64 v[7:8], v[13:14], v[7:8], v[9:10]
	v_mul_u32_u24_e32 v9, 3, v1
	v_and_or_b32 v10, v49, 64, v0
	v_lshlrev_b32_e32 v49, 4, v9
	v_lshlrev_b32_e32 v9, 7, v10
	v_add3_u32 v50, 0, v9, v5
	v_add_f64 v[9:10], v[31:32], -v[39:40]
	v_add_f64 v[11:12], v[33:34], -v[41:42]
	;; [unrolled: 1-line block ×5, first 2 shown]
	v_fma_f64 v[41:42], v[23:24], 2.0, -v[27:28]
	v_fma_f64 v[43:44], v[25:26], 2.0, -v[29:30]
	v_and_or_b32 v0, v45, s4, v0
	v_fma_f64 v[23:24], v[31:32], 2.0, -v[9:10]
	v_fma_f64 v[25:26], v[33:34], 2.0, -v[11:12]
	;; [unrolled: 1-line block ×6, first 2 shown]
	v_add_f64 v[7:8], v[27:28], -v[11:12]
	v_add_f64 v[9:10], v[29:30], v[9:10]
	v_add_f64 v[15:16], v[41:42], -v[23:24]
	v_add_f64 v[17:18], v[43:44], -v[25:26]
	;; [unrolled: 1-line block ×3, first 2 shown]
	v_add_f64 v[13:14], v[39:40], v[13:14]
	v_add_f64 v[19:20], v[45:46], -v[19:20]
	v_add_f64 v[21:22], v[47:48], -v[21:22]
	v_fma_f64 v[23:24], v[27:28], 2.0, -v[7:8]
	v_fma_f64 v[25:26], v[29:30], 2.0, -v[9:10]
	;; [unrolled: 1-line block ×8, first 2 shown]
	v_lshlrev_b32_e32 v0, 7, v0
	v_add3_u32 v0, 0, v0, v5
	ds_write_b128 v50, v[7:10] offset:6144
	ds_write_b128 v50, v[23:26] offset:2048
	;; [unrolled: 1-line block ×3, first 2 shown]
	ds_write_b128 v50, v[31:34]
	ds_write_b128 v0, v[35:38]
	ds_write_b128 v0, v[27:30] offset:2048
	ds_write_b128 v0, v[19:22] offset:4096
	ds_write_b128 v0, v[11:14] offset:6144
	s_waitcnt lgkmcnt(0)
	s_barrier
	global_load_dwordx4 v[7:10], v49, s[24:25] offset:960
	global_load_dwordx4 v[11:14], v49, s[24:25] offset:976
	;; [unrolled: 1-line block ×3, first 2 shown]
	v_mul_u32_u24_e32 v0, 3, v4
	v_lshlrev_b32_e32 v0, 4, v0
	global_load_dwordx4 v[19:22], v0, s[24:25] offset:960
	ds_read_b128 v[23:26], v3 offset:8192
	ds_read_b128 v[27:30], v3
	ds_read_b128 v[31:34], v3 offset:16384
	ds_read_b128 v[35:38], v3 offset:12288
	v_or_b32_e32 v45, s13, v2
	s_mul_i32 s4, s6, s12
	s_mul_i32 s6, s14, s3
	s_waitcnt vmcnt(3) lgkmcnt(3)
	v_mul_f64 v[39:40], v[25:26], v[9:10]
	v_mul_f64 v[9:10], v[23:24], v[9:10]
	s_waitcnt vmcnt(2) lgkmcnt(1)
	v_mul_f64 v[41:42], v[33:34], v[13:14]
	v_mul_f64 v[13:14], v[31:32], v[13:14]
	v_fma_f64 v[23:24], v[23:24], v[7:8], -v[39:40]
	v_fma_f64 v[25:26], v[25:26], v[7:8], v[9:10]
	ds_read_b128 v[7:10], v3 offset:24576
	v_fma_f64 v[31:32], v[31:32], v[11:12], -v[41:42]
	v_fma_f64 v[33:34], v[33:34], v[11:12], v[13:14]
	ds_read_b128 v[11:14], v3 offset:20480
	s_waitcnt vmcnt(1) lgkmcnt(1)
	v_mul_f64 v[39:40], v[9:10], v[17:18]
	v_mul_f64 v[17:18], v[7:8], v[17:18]
	v_fma_f64 v[39:40], v[7:8], v[15:16], -v[39:40]
	v_fma_f64 v[41:42], v[9:10], v[15:16], v[17:18]
	global_load_dwordx4 v[7:10], v0, s[24:25] offset:976
	s_waitcnt vmcnt(1)
	v_mul_f64 v[15:16], v[37:38], v[21:22]
	v_mul_f64 v[17:18], v[35:36], v[21:22]
	v_fma_f64 v[35:36], v[35:36], v[19:20], -v[15:16]
	v_fma_f64 v[37:38], v[37:38], v[19:20], v[17:18]
	global_load_dwordx4 v[15:18], v0, s[24:25] offset:992
	ds_read_b128 v[19:22], v3 offset:28672
	s_waitcnt vmcnt(1) lgkmcnt(1)
	v_mul_f64 v[43:44], v[13:14], v[9:10]
	v_mul_f64 v[9:10], v[11:12], v[9:10]
	v_fma_f64 v[43:44], v[11:12], v[7:8], -v[43:44]
	v_fma_f64 v[13:14], v[13:14], v[7:8], v[9:10]
	ds_read_b128 v[5:8], v6
	s_waitcnt vmcnt(0) lgkmcnt(1)
	v_mul_f64 v[9:10], v[21:22], v[17:18]
	v_mul_f64 v[11:12], v[19:20], v[17:18]
	v_mad_u64_u32 v[2:3], s[8:9], s0, v45, 0
	v_mov_b32_e32 v0, v3
	v_fma_f64 v[17:18], v[19:20], v[15:16], -v[9:10]
	v_fma_f64 v[15:16], v[21:22], v[15:16], v[11:12]
	v_mul_lo_u32 v19, v1, s2
	v_mad_u64_u32 v[0:1], s[0:1], s1, v45, v[0:1]
	v_add_f64 v[21:22], v[27:28], -v[31:32]
	v_add_f64 v[31:32], v[29:30], -v[33:34]
	;; [unrolled: 1-line block ×4, first 2 shown]
	s_lshl_b64 s[0:1], s[6:7], 4
	s_add_u32 s3, s10, s0
	v_mov_b32_e32 v3, v0
	s_addc_u32 s6, s11, s1
	s_lshl_b64 s[0:1], s[4:5], 4
	v_lshlrev_b64 v[0:1], 4, v[2:3]
	s_add_u32 s0, s3, s0
	s_addc_u32 s1, s6, s1
	v_mov_b32_e32 v2, s1
	v_add_co_u32_e32 v53, vcc, s0, v0
	v_addc_co_u32_e32 v54, vcc, v2, v1, vcc
	v_fma_f64 v[11:12], v[27:28], 2.0, -v[21:22]
	v_fma_f64 v[27:28], v[29:30], 2.0, -v[31:32]
	;; [unrolled: 1-line block ×4, first 2 shown]
	v_mov_b32_e32 v20, 0
	v_lshlrev_b64 v[9:10], 4, v[19:20]
	s_lshl_b32 s3, s2, 6
	v_add_u32_e32 v19, s3, v19
	v_lshlrev_b64 v[23:24], 4, v[19:20]
	v_add_co_u32_e32 v25, vcc, v53, v9
	v_add_f64 v[0:1], v[11:12], -v[0:1]
	v_add_f64 v[2:3], v[27:28], -v[2:3]
	v_add_u32_e32 v19, s3, v19
	v_addc_co_u32_e32 v26, vcc, v54, v10, vcc
	v_add_co_u32_e32 v29, vcc, v53, v23
	v_lshlrev_b64 v[9:10], 4, v[19:20]
	v_addc_co_u32_e32 v30, vcc, v54, v24, vcc
	v_add_co_u32_e32 v41, vcc, v53, v9
	v_addc_co_u32_e32 v42, vcc, v54, v10, vcc
	v_fma_f64 v[9:10], v[11:12], 2.0, -v[0:1]
	v_fma_f64 v[11:12], v[27:28], 2.0, -v[2:3]
	v_add_u32_e32 v19, s3, v19
	v_lshlrev_b64 v[23:24], 4, v[19:20]
	v_mul_lo_u32 v19, v4, s2
	v_add_co_u32_e32 v45, vcc, v53, v23
	v_addc_co_u32_e32 v46, vcc, v54, v24, vcc
	global_store_dwordx4 v[25:26], v[9:12], off
	s_waitcnt lgkmcnt(0)
	v_add_f64 v[24:25], v[5:6], -v[43:44]
	v_lshlrev_b64 v[9:10], 4, v[19:20]
	v_add_u32_e32 v19, s3, v19
	v_lshlrev_b64 v[11:12], 4, v[19:20]
	v_add_co_u32_e32 v47, vcc, v53, v9
	v_addc_co_u32_e32 v48, vcc, v54, v10, vcc
	v_add_co_u32_e32 v49, vcc, v53, v11
	v_addc_co_u32_e32 v50, vcc, v54, v12, vcc
	v_add_f64 v[26:27], v[7:8], -v[13:14]
	v_add_f64 v[17:18], v[35:36], -v[17:18]
	;; [unrolled: 1-line block ×3, first 2 shown]
	v_add_u32_e32 v19, s3, v19
	v_lshlrev_b64 v[9:10], 4, v[19:20]
	v_add_u32_e32 v19, s3, v19
	v_add_co_u32_e32 v51, vcc, v53, v9
	v_addc_co_u32_e32 v52, vcc, v54, v10, vcc
	v_lshlrev_b64 v[9:10], 4, v[19:20]
	v_fma_f64 v[43:44], v[5:6], 2.0, -v[24:25]
	v_add_co_u32_e32 v53, vcc, v53, v9
	v_addc_co_u32_e32 v54, vcc, v54, v10, vcc
	v_fma_f64 v[55:56], v[7:8], 2.0, -v[26:27]
	v_fma_f64 v[8:9], v[35:36], 2.0, -v[17:18]
	;; [unrolled: 1-line block ×3, first 2 shown]
	v_add_f64 v[4:5], v[21:22], -v[39:40]
	v_add_f64 v[6:7], v[31:32], v[33:34]
	v_add_f64 v[12:13], v[24:25], -v[12:13]
	v_add_f64 v[14:15], v[26:27], v[17:18]
	v_add_f64 v[8:9], v[43:44], -v[8:9]
	v_add_f64 v[10:11], v[55:56], -v[10:11]
	v_fma_f64 v[16:17], v[21:22], 2.0, -v[4:5]
	v_fma_f64 v[18:19], v[31:32], 2.0, -v[6:7]
	;; [unrolled: 1-line block ×6, first 2 shown]
	global_store_dwordx4 v[29:30], v[16:19], off
	global_store_dwordx4 v[41:42], v[0:3], off
	;; [unrolled: 1-line block ×7, first 2 shown]
	s_endpgm
	.section	.rodata,"a",@progbits
	.p2align	6, 0x0
	.amdhsa_kernel fft_rtc_fwd_len256_factors_4_4_4_4_wgs_256_tpt_32_dp_op_CI_CI_sbrc_xy_z_aligned_dirReg
		.amdhsa_group_segment_fixed_size 0
		.amdhsa_private_segment_fixed_size 0
		.amdhsa_kernarg_size 104
		.amdhsa_user_sgpr_count 6
		.amdhsa_user_sgpr_private_segment_buffer 1
		.amdhsa_user_sgpr_dispatch_ptr 0
		.amdhsa_user_sgpr_queue_ptr 0
		.amdhsa_user_sgpr_kernarg_segment_ptr 1
		.amdhsa_user_sgpr_dispatch_id 0
		.amdhsa_user_sgpr_flat_scratch_init 0
		.amdhsa_user_sgpr_private_segment_size 0
		.amdhsa_uses_dynamic_stack 0
		.amdhsa_system_sgpr_private_segment_wavefront_offset 0
		.amdhsa_system_sgpr_workgroup_id_x 1
		.amdhsa_system_sgpr_workgroup_id_y 0
		.amdhsa_system_sgpr_workgroup_id_z 0
		.amdhsa_system_sgpr_workgroup_info 0
		.amdhsa_system_vgpr_workitem_id 0
		.amdhsa_next_free_vgpr 57
		.amdhsa_next_free_sgpr 32
		.amdhsa_reserve_vcc 1
		.amdhsa_reserve_flat_scratch 0
		.amdhsa_float_round_mode_32 0
		.amdhsa_float_round_mode_16_64 0
		.amdhsa_float_denorm_mode_32 3
		.amdhsa_float_denorm_mode_16_64 3
		.amdhsa_dx10_clamp 1
		.amdhsa_ieee_mode 1
		.amdhsa_fp16_overflow 0
		.amdhsa_exception_fp_ieee_invalid_op 0
		.amdhsa_exception_fp_denorm_src 0
		.amdhsa_exception_fp_ieee_div_zero 0
		.amdhsa_exception_fp_ieee_overflow 0
		.amdhsa_exception_fp_ieee_underflow 0
		.amdhsa_exception_fp_ieee_inexact 0
		.amdhsa_exception_int_div_zero 0
	.end_amdhsa_kernel
	.text
.Lfunc_end0:
	.size	fft_rtc_fwd_len256_factors_4_4_4_4_wgs_256_tpt_32_dp_op_CI_CI_sbrc_xy_z_aligned_dirReg, .Lfunc_end0-fft_rtc_fwd_len256_factors_4_4_4_4_wgs_256_tpt_32_dp_op_CI_CI_sbrc_xy_z_aligned_dirReg
                                        ; -- End function
	.section	.AMDGPU.csdata,"",@progbits
; Kernel info:
; codeLenInByte = 3680
; NumSgprs: 36
; NumVgprs: 57
; ScratchSize: 0
; MemoryBound: 0
; FloatMode: 240
; IeeeMode: 1
; LDSByteSize: 0 bytes/workgroup (compile time only)
; SGPRBlocks: 4
; VGPRBlocks: 14
; NumSGPRsForWavesPerEU: 36
; NumVGPRsForWavesPerEU: 57
; Occupancy: 4
; WaveLimiterHint : 1
; COMPUTE_PGM_RSRC2:SCRATCH_EN: 0
; COMPUTE_PGM_RSRC2:USER_SGPR: 6
; COMPUTE_PGM_RSRC2:TRAP_HANDLER: 0
; COMPUTE_PGM_RSRC2:TGID_X_EN: 1
; COMPUTE_PGM_RSRC2:TGID_Y_EN: 0
; COMPUTE_PGM_RSRC2:TGID_Z_EN: 0
; COMPUTE_PGM_RSRC2:TIDIG_COMP_CNT: 0
	.type	__hip_cuid_d69621f1ae83577,@object ; @__hip_cuid_d69621f1ae83577
	.section	.bss,"aw",@nobits
	.globl	__hip_cuid_d69621f1ae83577
__hip_cuid_d69621f1ae83577:
	.byte	0                               ; 0x0
	.size	__hip_cuid_d69621f1ae83577, 1

	.ident	"AMD clang version 19.0.0git (https://github.com/RadeonOpenCompute/llvm-project roc-6.4.0 25133 c7fe45cf4b819c5991fe208aaa96edf142730f1d)"
	.section	".note.GNU-stack","",@progbits
	.addrsig
	.addrsig_sym __hip_cuid_d69621f1ae83577
	.amdgpu_metadata
---
amdhsa.kernels:
  - .args:
      - .actual_access:  read_only
        .address_space:  global
        .offset:         0
        .size:           8
        .value_kind:     global_buffer
      - .offset:         8
        .size:           8
        .value_kind:     by_value
      - .actual_access:  read_only
        .address_space:  global
        .offset:         16
        .size:           8
        .value_kind:     global_buffer
      - .actual_access:  read_only
        .address_space:  global
        .offset:         24
        .size:           8
        .value_kind:     global_buffer
      - .actual_access:  read_only
        .address_space:  global
        .offset:         32
        .size:           8
        .value_kind:     global_buffer
      - .offset:         40
        .size:           8
        .value_kind:     by_value
      - .actual_access:  read_only
        .address_space:  global
        .offset:         48
        .size:           8
        .value_kind:     global_buffer
      - .actual_access:  read_only
        .address_space:  global
        .offset:         56
        .size:           8
        .value_kind:     global_buffer
      - .offset:         64
        .size:           4
        .value_kind:     by_value
      - .actual_access:  read_only
        .address_space:  global
        .offset:         72
        .size:           8
        .value_kind:     global_buffer
      - .actual_access:  read_only
        .address_space:  global
        .offset:         80
        .size:           8
        .value_kind:     global_buffer
      - .actual_access:  read_only
        .address_space:  global
        .offset:         88
        .size:           8
        .value_kind:     global_buffer
      - .actual_access:  write_only
        .address_space:  global
        .offset:         96
        .size:           8
        .value_kind:     global_buffer
    .group_segment_fixed_size: 0
    .kernarg_segment_align: 8
    .kernarg_segment_size: 104
    .language:       OpenCL C
    .language_version:
      - 2
      - 0
    .max_flat_workgroup_size: 256
    .name:           fft_rtc_fwd_len256_factors_4_4_4_4_wgs_256_tpt_32_dp_op_CI_CI_sbrc_xy_z_aligned_dirReg
    .private_segment_fixed_size: 0
    .sgpr_count:     36
    .sgpr_spill_count: 0
    .symbol:         fft_rtc_fwd_len256_factors_4_4_4_4_wgs_256_tpt_32_dp_op_CI_CI_sbrc_xy_z_aligned_dirReg.kd
    .uniform_work_group_size: 1
    .uses_dynamic_stack: false
    .vgpr_count:     57
    .vgpr_spill_count: 0
    .wavefront_size: 64
amdhsa.target:   amdgcn-amd-amdhsa--gfx906
amdhsa.version:
  - 1
  - 2
...

	.end_amdgpu_metadata
